;; amdgpu-corpus repo=ROCm/rocFFT kind=compiled arch=gfx1030 opt=O3
	.text
	.amdgcn_target "amdgcn-amd-amdhsa--gfx1030"
	.amdhsa_code_object_version 6
	.protected	fft_rtc_fwd_len840_factors_2_2_2_3_5_7_wgs_56_tpt_56_halfLds_half_ip_CI_unitstride_sbrr_R2C_dirReg ; -- Begin function fft_rtc_fwd_len840_factors_2_2_2_3_5_7_wgs_56_tpt_56_halfLds_half_ip_CI_unitstride_sbrr_R2C_dirReg
	.globl	fft_rtc_fwd_len840_factors_2_2_2_3_5_7_wgs_56_tpt_56_halfLds_half_ip_CI_unitstride_sbrr_R2C_dirReg
	.p2align	8
	.type	fft_rtc_fwd_len840_factors_2_2_2_3_5_7_wgs_56_tpt_56_halfLds_half_ip_CI_unitstride_sbrr_R2C_dirReg,@function
fft_rtc_fwd_len840_factors_2_2_2_3_5_7_wgs_56_tpt_56_halfLds_half_ip_CI_unitstride_sbrr_R2C_dirReg: ; @fft_rtc_fwd_len840_factors_2_2_2_3_5_7_wgs_56_tpt_56_halfLds_half_ip_CI_unitstride_sbrr_R2C_dirReg
; %bb.0:
	s_clause 0x2
	s_load_dwordx4 s[8:11], s[4:5], 0x0
	s_load_dwordx2 s[12:13], s[4:5], 0x50
	s_load_dwordx2 s[2:3], s[4:5], 0x18
	v_mul_u32_u24_e32 v1, 0x493, v0
	v_mov_b32_e32 v3, 0
	v_add_nc_u32_sdwa v5, s6, v1 dst_sel:DWORD dst_unused:UNUSED_PAD src0_sel:DWORD src1_sel:WORD_1
	v_mov_b32_e32 v1, 0
	v_mov_b32_e32 v6, v3
	v_mov_b32_e32 v2, 0
	s_waitcnt lgkmcnt(0)
	v_cmp_lt_u64_e64 s0, s[10:11], 2
	s_and_b32 vcc_lo, exec_lo, s0
	s_cbranch_vccnz .LBB0_8
; %bb.1:
	s_load_dwordx2 s[0:1], s[4:5], 0x10
	v_mov_b32_e32 v1, 0
	s_add_u32 s6, s2, 8
	v_mov_b32_e32 v2, 0
	s_addc_u32 s7, s3, 0
	s_mov_b64 s[16:17], 1
	s_waitcnt lgkmcnt(0)
	s_add_u32 s14, s0, 8
	s_addc_u32 s15, s1, 0
.LBB0_2:                                ; =>This Inner Loop Header: Depth=1
	s_load_dwordx2 s[18:19], s[14:15], 0x0
                                        ; implicit-def: $vgpr7_vgpr8
	s_mov_b32 s0, exec_lo
	s_waitcnt lgkmcnt(0)
	v_or_b32_e32 v4, s19, v6
	v_cmpx_ne_u64_e32 0, v[3:4]
	s_xor_b32 s1, exec_lo, s0
	s_cbranch_execz .LBB0_4
; %bb.3:                                ;   in Loop: Header=BB0_2 Depth=1
	v_cvt_f32_u32_e32 v4, s18
	v_cvt_f32_u32_e32 v7, s19
	s_sub_u32 s0, 0, s18
	s_subb_u32 s20, 0, s19
	v_fmac_f32_e32 v4, 0x4f800000, v7
	v_rcp_f32_e32 v4, v4
	v_mul_f32_e32 v4, 0x5f7ffffc, v4
	v_mul_f32_e32 v7, 0x2f800000, v4
	v_trunc_f32_e32 v7, v7
	v_fmac_f32_e32 v4, 0xcf800000, v7
	v_cvt_u32_f32_e32 v7, v7
	v_cvt_u32_f32_e32 v4, v4
	v_mul_lo_u32 v8, s0, v7
	v_mul_hi_u32 v9, s0, v4
	v_mul_lo_u32 v10, s20, v4
	v_add_nc_u32_e32 v8, v9, v8
	v_mul_lo_u32 v9, s0, v4
	v_add_nc_u32_e32 v8, v8, v10
	v_mul_hi_u32 v10, v4, v9
	v_mul_lo_u32 v11, v4, v8
	v_mul_hi_u32 v12, v4, v8
	v_mul_hi_u32 v13, v7, v9
	v_mul_lo_u32 v9, v7, v9
	v_mul_hi_u32 v14, v7, v8
	v_mul_lo_u32 v8, v7, v8
	v_add_co_u32 v10, vcc_lo, v10, v11
	v_add_co_ci_u32_e32 v11, vcc_lo, 0, v12, vcc_lo
	v_add_co_u32 v9, vcc_lo, v10, v9
	v_add_co_ci_u32_e32 v9, vcc_lo, v11, v13, vcc_lo
	v_add_co_ci_u32_e32 v10, vcc_lo, 0, v14, vcc_lo
	v_add_co_u32 v8, vcc_lo, v9, v8
	v_add_co_ci_u32_e32 v9, vcc_lo, 0, v10, vcc_lo
	v_add_co_u32 v4, vcc_lo, v4, v8
	v_add_co_ci_u32_e32 v7, vcc_lo, v7, v9, vcc_lo
	v_mul_hi_u32 v8, s0, v4
	v_mul_lo_u32 v10, s20, v4
	v_mul_lo_u32 v9, s0, v7
	v_add_nc_u32_e32 v8, v8, v9
	v_mul_lo_u32 v9, s0, v4
	v_add_nc_u32_e32 v8, v8, v10
	v_mul_hi_u32 v10, v4, v9
	v_mul_lo_u32 v11, v4, v8
	v_mul_hi_u32 v12, v4, v8
	v_mul_hi_u32 v13, v7, v9
	v_mul_lo_u32 v9, v7, v9
	v_mul_hi_u32 v14, v7, v8
	v_mul_lo_u32 v8, v7, v8
	v_add_co_u32 v10, vcc_lo, v10, v11
	v_add_co_ci_u32_e32 v11, vcc_lo, 0, v12, vcc_lo
	v_add_co_u32 v9, vcc_lo, v10, v9
	v_add_co_ci_u32_e32 v9, vcc_lo, v11, v13, vcc_lo
	v_add_co_ci_u32_e32 v10, vcc_lo, 0, v14, vcc_lo
	v_add_co_u32 v8, vcc_lo, v9, v8
	v_add_co_ci_u32_e32 v9, vcc_lo, 0, v10, vcc_lo
	v_add_co_u32 v4, vcc_lo, v4, v8
	v_add_co_ci_u32_e32 v11, vcc_lo, v7, v9, vcc_lo
	v_mul_hi_u32 v13, v5, v4
	v_mad_u64_u32 v[9:10], null, v6, v4, 0
	v_mad_u64_u32 v[7:8], null, v5, v11, 0
	;; [unrolled: 1-line block ×3, first 2 shown]
	v_add_co_u32 v4, vcc_lo, v13, v7
	v_add_co_ci_u32_e32 v7, vcc_lo, 0, v8, vcc_lo
	v_add_co_u32 v4, vcc_lo, v4, v9
	v_add_co_ci_u32_e32 v4, vcc_lo, v7, v10, vcc_lo
	v_add_co_ci_u32_e32 v7, vcc_lo, 0, v12, vcc_lo
	v_add_co_u32 v4, vcc_lo, v4, v11
	v_add_co_ci_u32_e32 v9, vcc_lo, 0, v7, vcc_lo
	v_mul_lo_u32 v10, s19, v4
	v_mad_u64_u32 v[7:8], null, s18, v4, 0
	v_mul_lo_u32 v11, s18, v9
	v_sub_co_u32 v7, vcc_lo, v5, v7
	v_add3_u32 v8, v8, v11, v10
	v_sub_nc_u32_e32 v10, v6, v8
	v_subrev_co_ci_u32_e64 v10, s0, s19, v10, vcc_lo
	v_add_co_u32 v11, s0, v4, 2
	v_add_co_ci_u32_e64 v12, s0, 0, v9, s0
	v_sub_co_u32 v13, s0, v7, s18
	v_sub_co_ci_u32_e32 v8, vcc_lo, v6, v8, vcc_lo
	v_subrev_co_ci_u32_e64 v10, s0, 0, v10, s0
	v_cmp_le_u32_e32 vcc_lo, s18, v13
	v_cmp_eq_u32_e64 s0, s19, v8
	v_cndmask_b32_e64 v13, 0, -1, vcc_lo
	v_cmp_le_u32_e32 vcc_lo, s19, v10
	v_cndmask_b32_e64 v14, 0, -1, vcc_lo
	v_cmp_le_u32_e32 vcc_lo, s18, v7
	;; [unrolled: 2-line block ×3, first 2 shown]
	v_cndmask_b32_e64 v15, 0, -1, vcc_lo
	v_cmp_eq_u32_e32 vcc_lo, s19, v10
	v_cndmask_b32_e64 v7, v15, v7, s0
	v_cndmask_b32_e32 v10, v14, v13, vcc_lo
	v_add_co_u32 v13, vcc_lo, v4, 1
	v_add_co_ci_u32_e32 v14, vcc_lo, 0, v9, vcc_lo
	v_cmp_ne_u32_e32 vcc_lo, 0, v10
	v_cndmask_b32_e32 v8, v14, v12, vcc_lo
	v_cndmask_b32_e32 v10, v13, v11, vcc_lo
	v_cmp_ne_u32_e32 vcc_lo, 0, v7
	v_cndmask_b32_e32 v8, v9, v8, vcc_lo
	v_cndmask_b32_e32 v7, v4, v10, vcc_lo
.LBB0_4:                                ;   in Loop: Header=BB0_2 Depth=1
	s_andn2_saveexec_b32 s0, s1
	s_cbranch_execz .LBB0_6
; %bb.5:                                ;   in Loop: Header=BB0_2 Depth=1
	v_cvt_f32_u32_e32 v4, s18
	s_sub_i32 s1, 0, s18
	v_rcp_iflag_f32_e32 v4, v4
	v_mul_f32_e32 v4, 0x4f7ffffe, v4
	v_cvt_u32_f32_e32 v4, v4
	v_mul_lo_u32 v7, s1, v4
	v_mul_hi_u32 v7, v4, v7
	v_add_nc_u32_e32 v4, v4, v7
	v_mul_hi_u32 v4, v5, v4
	v_mul_lo_u32 v7, v4, s18
	v_add_nc_u32_e32 v8, 1, v4
	v_sub_nc_u32_e32 v7, v5, v7
	v_subrev_nc_u32_e32 v9, s18, v7
	v_cmp_le_u32_e32 vcc_lo, s18, v7
	v_cndmask_b32_e32 v7, v7, v9, vcc_lo
	v_cndmask_b32_e32 v4, v4, v8, vcc_lo
	v_cmp_le_u32_e32 vcc_lo, s18, v7
	v_add_nc_u32_e32 v8, 1, v4
	v_cndmask_b32_e32 v7, v4, v8, vcc_lo
	v_mov_b32_e32 v8, v3
.LBB0_6:                                ;   in Loop: Header=BB0_2 Depth=1
	s_or_b32 exec_lo, exec_lo, s0
	s_load_dwordx2 s[0:1], s[6:7], 0x0
	v_mul_lo_u32 v4, v8, s18
	v_mul_lo_u32 v11, v7, s19
	v_mad_u64_u32 v[9:10], null, v7, s18, 0
	s_add_u32 s16, s16, 1
	s_addc_u32 s17, s17, 0
	s_add_u32 s6, s6, 8
	s_addc_u32 s7, s7, 0
	;; [unrolled: 2-line block ×3, first 2 shown]
	v_add3_u32 v4, v10, v11, v4
	v_sub_co_u32 v5, vcc_lo, v5, v9
	v_sub_co_ci_u32_e32 v4, vcc_lo, v6, v4, vcc_lo
	s_waitcnt lgkmcnt(0)
	v_mul_lo_u32 v6, s1, v5
	v_mul_lo_u32 v4, s0, v4
	v_mad_u64_u32 v[1:2], null, s0, v5, v[1:2]
	v_cmp_ge_u64_e64 s0, s[16:17], s[10:11]
	s_and_b32 vcc_lo, exec_lo, s0
	v_add3_u32 v2, v6, v2, v4
	s_cbranch_vccnz .LBB0_9
; %bb.7:                                ;   in Loop: Header=BB0_2 Depth=1
	v_mov_b32_e32 v5, v7
	v_mov_b32_e32 v6, v8
	s_branch .LBB0_2
.LBB0_8:
	v_mov_b32_e32 v8, v6
	v_mov_b32_e32 v7, v5
.LBB0_9:
	s_lshl_b64 s[0:1], s[10:11], 3
	v_mul_hi_u32 v3, 0x4924925, v0
	s_add_u32 s0, s2, s0
	s_addc_u32 s1, s3, s1
	s_load_dwordx2 s[2:3], s[4:5], 0x20
	s_load_dwordx2 s[0:1], s[0:1], 0x0
	v_mul_u32_u24_e32 v3, 56, v3
	v_sub_nc_u32_e32 v12, v0, v3
	v_add_nc_u32_e32 v16, 56, v12
	v_add_nc_u32_e32 v23, 0x70, v12
	;; [unrolled: 1-line block ×5, first 2 shown]
	s_waitcnt lgkmcnt(0)
	v_cmp_gt_u64_e32 vcc_lo, s[2:3], v[7:8]
	v_mul_lo_u32 v3, s0, v8
	v_mul_lo_u32 v4, s1, v7
	v_mad_u64_u32 v[0:1], null, s0, v7, v[1:2]
	v_cmp_le_u64_e64 s0, s[2:3], v[7:8]
	v_add_nc_u32_e32 v19, 0x150, v12
	v_add_nc_u32_e32 v18, 0x188, v12
	v_add3_u32 v1, v4, v1, v3
	s_and_saveexec_b32 s1, s0
	s_xor_b32 s0, exec_lo, s1
; %bb.10:
	v_add_nc_u32_e32 v16, 56, v12
	v_add_nc_u32_e32 v23, 0x70, v12
	;; [unrolled: 1-line block ×7, first 2 shown]
; %bb.11:
	s_or_saveexec_b32 s1, s0
	v_lshlrev_b64 v[14:15], 2, v[0:1]
	s_xor_b32 exec_lo, exec_lo, s1
	s_cbranch_execz .LBB0_13
; %bb.12:
	v_mov_b32_e32 v13, 0
	v_add_co_u32 v2, s0, s12, v14
	v_add_co_ci_u32_e64 v3, s0, s13, v15, s0
	v_lshlrev_b64 v[0:1], 2, v[12:13]
	v_add_co_u32 v0, s0, v2, v0
	v_add_co_ci_u32_e64 v1, s0, v3, v1, s0
	v_add_co_u32 v2, s0, 0x800, v0
	v_add_co_ci_u32_e64 v3, s0, 0, v1, s0
	s_clause 0xe
	global_load_dword v4, v[0:1], off
	global_load_dword v5, v[0:1], off offset:224
	global_load_dword v6, v[0:1], off offset:448
	global_load_dword v7, v[0:1], off offset:672
	global_load_dword v8, v[0:1], off offset:896
	global_load_dword v9, v[0:1], off offset:1120
	global_load_dword v10, v[0:1], off offset:1344
	global_load_dword v11, v[0:1], off offset:1568
	global_load_dword v13, v[0:1], off offset:1792
	global_load_dword v0, v[0:1], off offset:2016
	global_load_dword v1, v[2:3], off offset:192
	global_load_dword v17, v[2:3], off offset:416
	global_load_dword v24, v[2:3], off offset:640
	global_load_dword v25, v[2:3], off offset:864
	global_load_dword v2, v[2:3], off offset:1088
	v_lshl_add_u32 v3, v12, 2, 0
	v_add_nc_u32_e32 v26, 0x200, v3
	v_add_nc_u32_e32 v27, 0x400, v3
	;; [unrolled: 1-line block ×3, first 2 shown]
	s_waitcnt vmcnt(13)
	ds_write2_b32 v3, v4, v5 offset1:56
	s_waitcnt vmcnt(11)
	ds_write2_b32 v3, v6, v7 offset0:112 offset1:168
	s_waitcnt vmcnt(9)
	ds_write2_b32 v26, v8, v9 offset0:96 offset1:152
	;; [unrolled: 2-line block ×6, first 2 shown]
	s_waitcnt vmcnt(0)
	ds_write_b32 v3, v2 offset:3136
.LBB0_13:
	s_or_b32 exec_lo, exec_lo, s1
	v_lshlrev_b32_e32 v13, 2, v12
	s_waitcnt lgkmcnt(0)
	s_barrier
	buffer_gl0_inv
	v_lshl_add_u32 v10, v16, 3, 0
	v_add_nc_u32_e32 v32, 0, v13
	v_lshl_add_u32 v11, v23, 3, 0
	v_lshl_add_u32 v9, v22, 3, 0
	;; [unrolled: 1-line block ×4, first 2 shown]
	v_add_nc_u32_e32 v0, 0x400, v32
	v_add_nc_u32_e32 v3, 0xa00, v32
	v_add_nc_u32_e32 v5, 0x200, v32
	v_add_nc_u32_e32 v4, 0x800, v32
	v_lshl_add_u32 v6, v19, 3, 0
	ds_read2_b32 v[1:2], v0 offset0:80 offset1:136
	ds_read2_b32 v[24:25], v3 offset0:116 offset1:172
	;; [unrolled: 1-line block ×6, first 2 shown]
	ds_read2_b32 v[37:38], v32 offset1:56
	ds_read2_b32 v[39:40], v0 offset0:164 offset1:220
	v_add_nc_u32_e32 v3, v32, v13
	v_cmp_gt_u32_e64 s0, 28, v12
	s_waitcnt lgkmcnt(0)
	s_barrier
	buffer_gl0_inv
	v_pk_add_f16 v31, v2, v25 neg_lo:[0,1] neg_hi:[0,1]
	v_pk_add_f16 v5, v1, v24 neg_lo:[0,1] neg_hi:[0,1]
	v_pk_add_f16 v17, v27, v29 neg_lo:[0,1] neg_hi:[0,1]
	v_pk_add_f16 v24, v26, v28 neg_lo:[0,1] neg_hi:[0,1]
	v_pk_add_f16 v25, v34, v36 neg_lo:[0,1] neg_hi:[0,1]
	v_pk_add_f16 v28, v33, v35 neg_lo:[0,1] neg_hi:[0,1]
	v_pk_add_f16 v29, v37, v39 neg_lo:[0,1] neg_hi:[0,1]
	v_pk_add_f16 v35, v38, v40 neg_lo:[0,1] neg_hi:[0,1]
	v_pk_fma_f16 v30, v2, 2.0, v31 op_sel_hi:[1,0,1] neg_lo:[0,0,1] neg_hi:[0,0,1]
	v_pk_fma_f16 v2, v27, 2.0, v17 op_sel_hi:[1,0,1] neg_lo:[0,0,1] neg_hi:[0,0,1]
	;; [unrolled: 1-line block ×8, first 2 shown]
	ds_write2_b32 v3, v27, v29 offset1:1
	ds_write2_b32 v10, v36, v35 offset1:1
	;; [unrolled: 1-line block ×7, first 2 shown]
	s_and_saveexec_b32 s1, s0
	s_cbranch_execz .LBB0_15
; %bb.14:
	v_lshl_add_u32 v1, v18, 3, 0
	ds_write2_b32 v1, v30, v31 offset1:1
.LBB0_15:
	s_or_b32 exec_lo, exec_lo, s1
	v_lshlrev_b32_e32 v40, 2, v23
	v_lshlrev_b32_e32 v44, 2, v22
	;; [unrolled: 1-line block ×6, first 2 shown]
	v_sub_nc_u32_e32 v24, v11, v40
	v_sub_nc_u32_e32 v25, v9, v44
	;; [unrolled: 1-line block ×5, first 2 shown]
	s_waitcnt lgkmcnt(0)
	s_barrier
	buffer_gl0_inv
	ds_read_b32 v34, v32
	ds_read2_b32 v[0:1], v0 offset0:164 offset1:220
	v_sub_nc_u32_e32 v17, v10, v29
	ds_read2_b32 v[2:3], v4 offset0:20 offset1:76
	ds_read2_b32 v[4:5], v4 offset0:132 offset1:188
	ds_read_b32 v35, v24
	ds_read_b32 v36, v25
	;; [unrolled: 1-line block ×6, first 2 shown]
	ds_read_b32 v42, v32 offset:3024
	v_lshlrev_b32_e32 v17, 1, v16
	v_lshlrev_b32_e32 v24, 1, v23
	;; [unrolled: 1-line block ×6, first 2 shown]
	v_lshrrev_b32_e32 v43, 16, v31
	v_lshl_add_u32 v33, v18, 2, 0
	s_and_saveexec_b32 s1, s0
	s_cbranch_execz .LBB0_17
; %bb.16:
	ds_read_b32 v31, v32 offset:3248
	ds_read_b32 v30, v33
	s_waitcnt lgkmcnt(1)
	v_lshrrev_b32_e32 v43, 16, v31
.LBB0_17:
	s_or_b32 exec_lo, exec_lo, s1
	v_and_b32_e32 v50, 1, v12
	v_sub_nc_u32_e32 v49, 0, v40
	v_lshlrev_b32_e32 v40, 1, v12
	v_sub_nc_u32_e32 v47, 0, v44
	v_sub_nc_u32_e32 v44, 0, v52
	v_lshlrev_b32_e32 v46, 2, v50
	v_and_or_b32 v54, 0xfc, v17, v50
	v_and_or_b32 v52, 0x7c, v40, v50
	v_and_or_b32 v55, 0x1fc, v24, v50
	v_and_or_b32 v56, 0x1fc, v25, v50
	global_load_dword v53, v46, s[8:9]
	v_sub_nc_u32_e32 v46, 0, v45
	v_sub_nc_u32_e32 v45, 0, v51
	s_waitcnt lgkmcnt(0)
	v_lshrrev_b32_e32 v51, 16, v30
	v_and_or_b32 v57, 0x3fc, v26, v50
	v_sub_nc_u32_e32 v48, 0, v29
	v_lshlrev_b32_e32 v29, 1, v18
	v_and_or_b32 v58, 0x2fc, v27, v50
	v_and_or_b32 v59, 0x3fc, v28, v50
	v_lshl_add_u32 v52, v52, 2, 0
	v_lshl_add_u32 v54, v54, 2, 0
	;; [unrolled: 1-line block ×7, first 2 shown]
	s_waitcnt vmcnt(0)
	s_barrier
	buffer_gl0_inv
	v_pk_mul_f16 v60, v53, v42 op_sel:[0,1]
	v_pk_mul_f16 v63, v53, v0 op_sel:[0,1]
	v_mul_f16_sdwa v61, v43, v53 dst_sel:DWORD dst_unused:UNUSED_PAD src0_sel:DWORD src1_sel:WORD_1
	v_pk_mul_f16 v64, v53, v1 op_sel:[0,1]
	v_pk_mul_f16 v65, v53, v2 op_sel:[0,1]
	;; [unrolled: 1-line block ×4, first 2 shown]
	v_mul_f16_sdwa v62, v31, v53 dst_sel:DWORD dst_unused:UNUSED_PAD src0_sel:DWORD src1_sel:WORD_1
	v_pk_mul_f16 v68, v53, v5 op_sel:[0,1]
	v_pk_fma_f16 v69, v53, v42, v60 op_sel:[0,0,1] op_sel_hi:[1,1,0] neg_lo:[0,0,1] neg_hi:[0,0,1]
	v_pk_fma_f16 v42, v53, v42, v60 op_sel:[0,0,1] op_sel_hi:[1,0,0]
	v_pk_fma_f16 v60, v53, v0, v63 op_sel:[0,0,1] op_sel_hi:[1,1,0] neg_lo:[0,0,1] neg_hi:[0,0,1]
	v_pk_fma_f16 v0, v53, v0, v63 op_sel:[0,0,1] op_sel_hi:[1,0,0]
	v_fma_f16 v31, v31, v53, -v61
	v_pk_fma_f16 v61, v53, v1, v64 op_sel:[0,0,1] op_sel_hi:[1,1,0] neg_lo:[0,0,1] neg_hi:[0,0,1]
	v_pk_fma_f16 v1, v53, v1, v64 op_sel:[0,0,1] op_sel_hi:[1,0,0]
	v_pk_fma_f16 v63, v53, v2, v65 op_sel:[0,0,1] op_sel_hi:[1,1,0] neg_lo:[0,0,1] neg_hi:[0,0,1]
	v_pk_fma_f16 v2, v53, v2, v65 op_sel:[0,0,1] op_sel_hi:[1,0,0]
	;; [unrolled: 2-line block ×4, first 2 shown]
	v_fmac_f16_e32 v62, v43, v53
	v_pk_fma_f16 v66, v53, v5, v68 op_sel:[0,0,1] op_sel_hi:[1,1,0] neg_lo:[0,0,1] neg_hi:[0,0,1]
	v_pk_fma_f16 v5, v53, v5, v68 op_sel:[0,0,1] op_sel_hi:[1,0,0]
	v_bfi_b32 v0, 0xffff, v60, v0
	v_bfi_b32 v1, 0xffff, v61, v1
	v_bfi_b32 v2, 0xffff, v63, v2
	v_bfi_b32 v3, 0xffff, v64, v3
	v_bfi_b32 v4, 0xffff, v65, v4
	v_bfi_b32 v53, 0xffff, v69, v42
	v_sub_f16_e32 v42, v30, v31
	v_sub_f16_e32 v43, v51, v62
	v_bfi_b32 v5, 0xffff, v66, v5
	v_pk_add_f16 v0, v34, v0 neg_lo:[0,1] neg_hi:[0,1]
	v_pk_add_f16 v1, v39, v1 neg_lo:[0,1] neg_hi:[0,1]
	;; [unrolled: 1-line block ×6, first 2 shown]
	v_fma_f16 v30, v30, 2.0, -v42
	v_fma_f16 v31, v51, 2.0, -v43
	v_pk_add_f16 v5, v38, v5 neg_lo:[0,1] neg_hi:[0,1]
	v_pk_fma_f16 v34, v34, 2.0, v0 op_sel_hi:[1,0,1] neg_lo:[0,0,1] neg_hi:[0,0,1]
	v_pk_fma_f16 v39, v39, 2.0, v1 op_sel_hi:[1,0,1] neg_lo:[0,0,1] neg_hi:[0,0,1]
	;; [unrolled: 1-line block ×7, first 2 shown]
	ds_write2_b32 v52, v34, v0 offset1:2
	ds_write2_b32 v54, v39, v1 offset1:2
	;; [unrolled: 1-line block ×7, first 2 shown]
	s_and_saveexec_b32 s1, s0
	s_cbranch_execz .LBB0_19
; %bb.18:
	v_and_or_b32 v0, 0x37c, v29, v50
	v_perm_b32 v1, v31, v30, 0x5040100
	v_perm_b32 v2, v43, v42, 0x5040100
	v_lshl_add_u32 v0, v0, 2, 0
	ds_write2_b32 v0, v1, v2 offset1:2
.LBB0_19:
	s_or_b32 exec_lo, exec_lo, s1
	v_add_nc_u32_e32 v4, 0x800, v32
	v_add_nc_u32_e32 v38, v11, v49
	;; [unrolled: 1-line block ×7, first 2 shown]
	s_waitcnt lgkmcnt(0)
	s_barrier
	buffer_gl0_inv
	ds_read_b32 v41, v32
	ds_read2_b32 v[2:3], v0 offset0:164 offset1:220
	v_add_nc_u32_e32 v39, v10, v48
	ds_read2_b32 v[0:1], v4 offset0:20 offset1:76
	ds_read2_b32 v[4:5], v4 offset0:132 offset1:188
	ds_read_b32 v6, v38
	ds_read_b32 v7, v37
	;; [unrolled: 1-line block ×6, first 2 shown]
	ds_read_b32 v45, v32 offset:3024
	s_and_saveexec_b32 s1, s0
	s_cbranch_execz .LBB0_21
; %bb.20:
	ds_read_b32 v30, v33
	ds_read_b32 v42, v32 offset:3248
	s_waitcnt lgkmcnt(1)
	v_lshrrev_b32_e32 v31, 16, v30
	s_waitcnt lgkmcnt(0)
	v_lshrrev_b32_e32 v43, 16, v42
.LBB0_21:
	s_or_b32 exec_lo, exec_lo, s1
	v_and_b32_e32 v44, 3, v12
	v_lshlrev_b32_e32 v46, 2, v44
	v_and_or_b32 v24, 0x1f8, v24, v44
	v_and_or_b32 v17, 0xf8, v17, v44
	;; [unrolled: 1-line block ×4, first 2 shown]
	global_load_dword v46, v46, s[8:9] offset:8
	v_lshl_add_u32 v48, v24, 2, 0
	v_lshl_add_u32 v47, v17, 2, 0
	v_and_or_b32 v26, 0x3f8, v26, v44
	v_and_or_b32 v27, 0x2f8, v27, v44
	;; [unrolled: 1-line block ×3, first 2 shown]
	v_lshl_add_u32 v40, v40, 2, 0
	v_lshl_add_u32 v25, v25, 2, 0
	;; [unrolled: 1-line block ×5, first 2 shown]
	s_waitcnt vmcnt(0) lgkmcnt(0)
	s_barrier
	buffer_gl0_inv
	v_mul_f16_sdwa v24, v43, v46 dst_sel:DWORD dst_unused:UNUSED_PAD src0_sel:DWORD src1_sel:WORD_1
	v_pk_mul_f16 v50, v46, v2 op_sel:[0,1]
	v_mul_f16_sdwa v49, v42, v46 dst_sel:DWORD dst_unused:UNUSED_PAD src0_sel:DWORD src1_sel:WORD_1
	v_pk_mul_f16 v51, v46, v3 op_sel:[0,1]
	v_pk_mul_f16 v17, v46, v45 op_sel:[0,1]
	;; [unrolled: 1-line block ×6, first 2 shown]
	v_fma_f16 v24, v42, v46, -v24
	v_pk_fma_f16 v42, v46, v2, v50 op_sel:[0,0,1] op_sel_hi:[1,1,0] neg_lo:[0,0,1] neg_hi:[0,0,1]
	v_pk_fma_f16 v2, v46, v2, v50 op_sel:[0,0,1] op_sel_hi:[1,0,0]
	v_fmac_f16_e32 v49, v43, v46
	v_pk_fma_f16 v43, v46, v3, v51 op_sel:[0,0,1] op_sel_hi:[1,1,0] neg_lo:[0,0,1] neg_hi:[0,0,1]
	v_pk_fma_f16 v3, v46, v3, v51 op_sel:[0,0,1] op_sel_hi:[1,0,0]
	v_pk_fma_f16 v56, v46, v45, v17 op_sel:[0,0,1] op_sel_hi:[1,1,0] neg_lo:[0,0,1] neg_hi:[0,0,1]
	v_pk_fma_f16 v17, v46, v45, v17 op_sel:[0,0,1] op_sel_hi:[1,0,0]
	;; [unrolled: 2-line block ×6, first 2 shown]
	v_bfi_b32 v2, 0xffff, v42, v2
	v_bfi_b32 v3, 0xffff, v43, v3
	;; [unrolled: 1-line block ×7, first 2 shown]
	v_pk_add_f16 v2, v41, v2 neg_lo:[0,1] neg_hi:[0,1]
	v_pk_add_f16 v3, v10, v3 neg_lo:[0,1] neg_hi:[0,1]
	;; [unrolled: 1-line block ×5, first 2 shown]
	v_sub_f16_e32 v24, v30, v24
	v_sub_f16_e32 v17, v31, v49
	v_pk_add_f16 v42, v11, v46 neg_lo:[0,1] neg_hi:[0,1]
	v_pk_add_f16 v5, v9, v5 neg_lo:[0,1] neg_hi:[0,1]
	v_pk_fma_f16 v41, v41, 2.0, v2 op_sel_hi:[1,0,1] neg_lo:[0,0,1] neg_hi:[0,0,1]
	v_pk_fma_f16 v10, v10, 2.0, v3 op_sel_hi:[1,0,1] neg_lo:[0,0,1] neg_hi:[0,0,1]
	v_pk_fma_f16 v6, v6, 2.0, v0 op_sel_hi:[1,0,1] neg_lo:[0,0,1] neg_hi:[0,0,1]
	v_pk_fma_f16 v7, v7, 2.0, v1 op_sel_hi:[1,0,1] neg_lo:[0,0,1] neg_hi:[0,0,1]
	v_pk_fma_f16 v8, v8, 2.0, v4 op_sel_hi:[1,0,1] neg_lo:[0,0,1] neg_hi:[0,0,1]
	v_pk_fma_f16 v11, v11, 2.0, v42 op_sel_hi:[1,0,1] neg_lo:[0,0,1] neg_hi:[0,0,1]
	v_pk_fma_f16 v9, v9, 2.0, v5 op_sel_hi:[1,0,1] neg_lo:[0,0,1] neg_hi:[0,0,1]
	ds_write2_b32 v40, v41, v2 offset1:4
	ds_write2_b32 v47, v10, v3 offset1:4
	;; [unrolled: 1-line block ×7, first 2 shown]
	s_and_saveexec_b32 s1, s0
	s_cbranch_execz .LBB0_23
; %bb.22:
	v_and_or_b32 v0, 0x378, v29, v44
	v_fma_f16 v1, v30, 2.0, -v24
	v_fma_f16 v2, v31, 2.0, -v17
	v_lshl_add_u32 v0, v0, 2, 0
	v_pack_b32_f16 v1, v1, v2
	v_perm_b32 v2, v17, v24, 0x5040100
	ds_write2_b32 v0, v1, v2 offset1:4
.LBB0_23:
	s_or_b32 exec_lo, exec_lo, s1
	v_and_b32_e32 v9, 7, v12
	s_waitcnt lgkmcnt(0)
	s_barrier
	buffer_gl0_inv
	v_add_nc_u32_e32 v26, 0x800, v32
	v_lshlrev_b32_e32 v0, 3, v9
	v_add_nc_u32_e32 v25, 0x400, v32
	ds_read_b32 v4, v32
	v_lshrrev_b32_e32 v27, 3, v12
	v_lshrrev_b32_e32 v28, 3, v16
	global_load_dwordx2 v[0:1], v0, s[8:9] offset:24
	ds_read_b32 v2, v37
	ds_read_b32 v8, v35
	ds_read_b32 v3, v36
	ds_read_b32 v5, v38
	ds_read_b32 v6, v39
	ds_read_b32 v7, v32 offset:3136
	ds_read2_b32 v[10:11], v26 offset0:48 offset1:104
	ds_read2_b32 v[40:41], v25 offset0:80 offset1:136
	;; [unrolled: 1-line block ×4, first 2 shown]
	v_lshrrev_b32_e32 v29, 3, v23
	v_and_b32_e32 v46, 0xff, v12
	v_and_b32_e32 v48, 0xff, v16
	v_lshrrev_b32_e32 v30, 3, v22
	v_lshrrev_b32_e32 v31, 3, v21
	v_and_b32_e32 v49, 0xff, v23
	v_mul_u32_u24_e32 v27, 24, v27
	v_mul_lo_u32 v50, v28, 24
	v_mul_lo_u32 v51, v29, 24
	v_mul_lo_u16 v28, 0xab, v46
	v_mul_lo_u16 v29, 0xab, v48
	v_mul_lo_u32 v30, v30, 24
	v_mul_lo_u32 v31, v31, 24
	v_mul_lo_u16 v46, 0xab, v49
	v_or_b32_e32 v48, v27, v9
	v_lshrrev_b16 v27, 12, v28
	v_lshrrev_b16 v28, 12, v29
	v_or_b32_e32 v49, v51, v9
	v_lshrrev_b16 v29, 12, v46
	v_or_b32_e32 v46, v50, v9
	v_or_b32_e32 v30, v30, v9
	;; [unrolled: 1-line block ×3, first 2 shown]
	v_mul_lo_u16 v31, v27, 24
	v_mul_lo_u16 v50, v28, 24
	s_waitcnt lgkmcnt(8)
	v_lshrrev_b32_e32 v58, 16, v8
	s_waitcnt lgkmcnt(3)
	v_lshrrev_b32_e32 v59, 16, v10
	;; [unrolled: 2-line block ×3, first 2 shown]
	v_lshrrev_b32_e32 v61, 16, v11
	v_lshrrev_b32_e32 v62, 16, v41
	s_waitcnt lgkmcnt(1)
	v_lshrrev_b32_e32 v63, 16, v42
	v_lshl_add_u32 v51, v30, 2, 0
	v_lshrrev_b32_e32 v57, 16, v7
	v_sub_nc_u16 v30, v12, v31
	v_sub_nc_u16 v31, v16, v50
	v_lshrrev_b32_e32 v50, 16, v43
	s_waitcnt lgkmcnt(0)
	v_lshrrev_b32_e32 v64, 16, v44
	v_lshrrev_b32_e32 v65, 16, v45
	;; [unrolled: 1-line block ×7, first 2 shown]
	v_lshl_add_u32 v48, v48, 2, 0
	v_lshl_add_u32 v46, v46, 2, 0
	;; [unrolled: 1-line block ×3, first 2 shown]
	s_waitcnt vmcnt(0)
	s_barrier
	buffer_gl0_inv
	v_lshl_add_u32 v9, v9, 2, 0
	v_mov_b32_e32 v47, 4
	v_cmp_gt_u32_e64 s1, 8, v12
	v_lshlrev_b32_sdwa v66, v47, v30 dst_sel:DWORD dst_unused:UNUSED_PAD src0_sel:DWORD src1_sel:BYTE_0
	v_mul_f16_sdwa v67, v0, v58 dst_sel:DWORD dst_unused:UNUSED_PAD src0_sel:WORD_1 src1_sel:DWORD
	v_mul_f16_sdwa v68, v0, v8 dst_sel:DWORD dst_unused:UNUSED_PAD src0_sel:WORD_1 src1_sel:DWORD
	;; [unrolled: 1-line block ×12, first 2 shown]
	v_mul_f16_sdwa v77, v50, v1 dst_sel:DWORD dst_unused:UNUSED_PAD src0_sel:DWORD src1_sel:WORD_1
	v_mul_f16_sdwa v80, v43, v1 dst_sel:DWORD dst_unused:UNUSED_PAD src0_sel:DWORD src1_sel:WORD_1
	;; [unrolled: 1-line block ×8, first 2 shown]
	v_fma_f16 v10, v1, v10, -v69
	v_fma_f16 v8, v0, v8, -v67
	v_fmac_f16_e32 v68, v0, v58
	v_fmac_f16_e32 v70, v1, v59
	v_fma_f16 v11, v1, v11, -v72
	v_fma_f16 v40, v0, v40, -v71
	v_fmac_f16_e32 v73, v0, v60
	v_fmac_f16_e32 v74, v1, v61
	;; [unrolled: 4-line block ×3, first 2 shown]
	v_fma_f16 v43, v43, v1, -v77
	v_fmac_f16_e32 v82, v64, v0
	v_fma_f16 v44, v44, v0, -v81
	v_fmac_f16_e32 v80, v50, v1
	;; [unrolled: 2-line block ×4, first 2 shown]
	v_add_f16_e32 v7, v8, v10
	v_add_f16_e32 v58, v68, v70
	;; [unrolled: 1-line block ×7, first 2 shown]
	v_sub_f16_e32 v50, v68, v70
	v_add_f16_e32 v57, v52, v68
	v_sub_f16_e32 v8, v8, v10
	v_add_f16_e32 v59, v6, v40
	v_add_f16_e32 v62, v53, v73
	;; [unrolled: 1-line block ×3, first 2 shown]
	v_sub_f16_e32 v67, v78, v79
	v_add_f16_e32 v68, v54, v78
	v_add_f16_e32 v72, v44, v43
	;; [unrolled: 1-line block ×5, first 2 shown]
	v_fmac_f16_e32 v4, -0.5, v7
	v_fmac_f16_e32 v52, -0.5, v58
	v_sub_f16_e32 v61, v73, v74
	v_sub_f16_e32 v40, v40, v11
	v_fmac_f16_e32 v6, -0.5, v60
	v_fmac_f16_e32 v53, -0.5, v63
	v_sub_f16_e32 v41, v41, v42
	v_sub_f16_e32 v73, v82, v80
	v_add_f16_e32 v75, v55, v82
	v_add_f16_e32 v77, v3, v45
	;; [unrolled: 1-line block ×3, first 2 shown]
	v_fmac_f16_e32 v5, -0.5, v65
	v_fmac_f16_e32 v54, -0.5, v69
	v_add_f16_e32 v71, v2, v44
	v_sub_f16_e32 v44, v44, v43
	v_sub_f16_e32 v81, v84, v86
	v_sub_f16_e32 v45, v45, v0
	v_add_f16_e32 v1, v1, v10
	v_add_f16_e32 v7, v57, v70
	;; [unrolled: 1-line block ×6, first 2 shown]
	v_fmac_f16_e32 v2, -0.5, v72
	v_fmac_f16_e32 v55, -0.5, v76
	;; [unrolled: 1-line block ×4, first 2 shown]
	v_fmamk_f16 v60, v50, 0x3aee, v4
	v_fmac_f16_e32 v4, 0xbaee, v50
	v_fmamk_f16 v50, v8, 0xbaee, v52
	v_fmac_f16_e32 v52, 0x3aee, v8
	;; [unrolled: 2-line block ×4, first 2 shown]
	v_add_f16_e32 v0, v77, v0
	v_add_f16_e32 v59, v82, v86
	v_fmamk_f16 v40, v67, 0x3aee, v5
	v_fmamk_f16 v62, v41, 0xbaee, v54
	v_add_f16_e32 v43, v71, v43
	v_add_f16_e32 v58, v75, v80
	v_fmac_f16_e32 v5, 0xbaee, v67
	v_fmac_f16_e32 v54, 0x3aee, v41
	v_fmamk_f16 v41, v73, 0x3aee, v2
	v_fmac_f16_e32 v2, 0xbaee, v73
	v_fmamk_f16 v63, v44, 0xbaee, v55
	;; [unrolled: 2-line block ×4, first 2 shown]
	v_fmac_f16_e32 v56, 0x3aee, v45
	v_pack_b32_f16 v1, v1, v7
	v_pack_b32_f16 v7, v10, v11
	;; [unrolled: 1-line block ×15, first 2 shown]
	ds_write2_b32 v48, v1, v42 offset1:8
	ds_write_b32 v48, v4 offset:64
	ds_write2_b32 v46, v7, v8 offset1:8
	ds_write_b32 v46, v6 offset:64
	;; [unrolled: 2-line block ×5, first 2 shown]
	v_mul_lo_u16 v0, v29, 24
	v_lshlrev_b32_sdwa v1, v47, v31 dst_sel:DWORD dst_unused:UNUSED_PAD src0_sel:DWORD src1_sel:BYTE_0
	s_waitcnt lgkmcnt(0)
	s_barrier
	buffer_gl0_inv
	v_sub_nc_u16 v40, v23, v0
	s_clause 0x1
	global_load_dwordx4 v[8:11], v66, s[8:9] offset:88
	global_load_dwordx4 v[4:7], v1, s[8:9] offset:88
	v_mov_b32_e32 v41, 0x1e0
	v_mov_b32_e32 v45, 2
	v_lshlrev_b32_sdwa v0, v47, v40 dst_sel:DWORD dst_unused:UNUSED_PAD src0_sel:DWORD src1_sel:BYTE_0
	v_add_nc_u32_e32 v46, 0xa0, v32
	v_add_nc_u32_e32 v47, 0x80, v32
	v_mul_u32_u24_sdwa v48, v27, v41 dst_sel:DWORD dst_unused:UNUSED_PAD src0_sel:WORD_0 src1_sel:DWORD
	v_mul_u32_u24_sdwa v49, v28, v41 dst_sel:DWORD dst_unused:UNUSED_PAD src0_sel:WORD_0 src1_sel:DWORD
	global_load_dwordx4 v[0:3], v0, s[8:9] offset:88
	v_mul_u32_u24_sdwa v50, v29, v41 dst_sel:DWORD dst_unused:UNUSED_PAD src0_sel:WORD_0 src1_sel:DWORD
	v_lshlrev_b32_sdwa v51, v45, v30 dst_sel:DWORD dst_unused:UNUSED_PAD src0_sel:DWORD src1_sel:BYTE_0
	ds_read2_b32 v[27:28], v32 offset1:224
	ds_read_b32 v52, v39
	ds_read2_b32 v[29:30], v25 offset0:24 offset1:136
	ds_read2_b32 v[41:42], v26 offset0:48 offset1:104
	;; [unrolled: 1-line block ×4, first 2 shown]
	ds_read_b32 v53, v34
	ds_read_b32 v54, v37
	;; [unrolled: 1-line block ×3, first 2 shown]
	ds_read_b32 v56, v32 offset:3136
	v_lshlrev_b32_sdwa v31, v45, v31 dst_sel:DWORD dst_unused:UNUSED_PAD src0_sel:DWORD src1_sel:BYTE_0
	v_lshlrev_b32_sdwa v40, v45, v40 dst_sel:DWORD dst_unused:UNUSED_PAD src0_sel:DWORD src1_sel:BYTE_0
	v_add_nc_u32_e32 v45, 0x60, v32
	v_add3_u32 v48, 0, v48, v51
	v_add_nc_u32_e32 v57, 64, v32
	v_add3_u32 v31, 0, v49, v31
	v_add3_u32 v49, 0, v50, v40
	ds_read_u16 v40, v32 offset:898
	s_waitcnt vmcnt(0) lgkmcnt(0)
	s_barrier
	v_lshrrev_b32_e32 v50, 16, v27
	v_lshrrev_b32_e32 v51, 16, v52
	;; [unrolled: 1-line block ×14, first 2 shown]
	buffer_gl0_inv
	v_mul_f16_sdwa v70, v8, v64 dst_sel:DWORD dst_unused:UNUSED_PAD src0_sel:WORD_1 src1_sel:DWORD
	v_mul_f16_sdwa v71, v8, v54 dst_sel:DWORD dst_unused:UNUSED_PAD src0_sel:WORD_1 src1_sel:DWORD
	;; [unrolled: 1-line block ×9, first 2 shown]
	v_mul_f16_sdwa v81, v30, v5 dst_sel:DWORD dst_unused:UNUSED_PAD src0_sel:DWORD src1_sel:WORD_1
	v_mul_f16_sdwa v83, v60, v7 dst_sel:DWORD dst_unused:UNUSED_PAD src0_sel:DWORD src1_sel:WORD_1
	;; [unrolled: 1-line block ×13, first 2 shown]
	v_fma_f16 v54, v8, v54, -v70
	v_fmac_f16_e32 v71, v8, v64
	v_fma_f16 v8, v9, v53, -v72
	v_fmac_f16_e32 v73, v9, v66
	v_fmac_f16_e32 v75, v10, v67
	v_fma_f16 v9, v10, v26, -v74
	v_fma_f16 v10, v11, v43, -v76
	v_mul_f16_sdwa v90, v63, v2 dst_sel:DWORD dst_unused:UNUSED_PAD src0_sel:DWORD src1_sel:WORD_1
	v_mul_f16_sdwa v92, v65, v3 dst_sel:DWORD dst_unused:UNUSED_PAD src0_sel:DWORD src1_sel:WORD_1
	v_fmac_f16_e32 v77, v11, v68
	v_fma_f16 v11, v44, v7, -v83
	v_fmac_f16_e32 v79, v40, v4
	v_fmac_f16_e32 v81, v58, v5
	;; [unrolled: 1-line block ×4, first 2 shown]
	v_fma_f16 v7, v29, v0, -v86
	v_fmac_f16_e32 v87, v61, v0
	v_fma_f16 v4, v4, v28, -v78
	v_fma_f16 v5, v30, v5, -v80
	;; [unrolled: 1-line block ×4, first 2 shown]
	v_fmac_f16_e32 v89, v62, v1
	v_fmac_f16_e32 v91, v63, v2
	;; [unrolled: 1-line block ×3, first 2 shown]
	v_add_f16_e32 v25, v8, v9
	v_sub_f16_e32 v26, v54, v8
	v_sub_f16_e32 v28, v10, v9
	v_add_f16_e32 v29, v54, v10
	v_fma_f16 v1, v42, v2, -v90
	v_fma_f16 v2, v56, v3, -v92
	v_add_f16_e32 v3, v27, v54
	v_add_f16_e32 v42, v50, v71
	v_add_f16_e32 v41, v73, v75
	v_sub_f16_e32 v56, v73, v71
	v_sub_f16_e32 v58, v75, v77
	;; [unrolled: 1-line block ×4, first 2 shown]
	v_add_f16_e32 v86, v55, v7
	v_add_f16_e32 v95, v69, v87
	v_sub_f16_e32 v43, v71, v73
	v_sub_f16_e32 v44, v77, v75
	v_add_f16_e32 v53, v71, v77
	v_add_f16_e32 v59, v52, v4
	;; [unrolled: 1-line block ×3, first 2 shown]
	v_sub_f16_e32 v61, v4, v5
	v_sub_f16_e32 v62, v11, v6
	v_add_f16_e32 v63, v4, v11
	v_add_f16_e32 v66, v51, v79
	;; [unrolled: 1-line block ×4, first 2 shown]
	v_fma_f16 v25, -0.5, v25, v27
	v_fmac_f16_e32 v27, -0.5, v29
	v_add_f16_e32 v29, v87, v93
	v_add_f16_e32 v67, v81, v84
	v_sub_f16_e32 v30, v8, v54
	v_sub_f16_e32 v40, v9, v10
	;; [unrolled: 1-line block ×4, first 2 shown]
	v_add_f16_e32 v72, v79, v85
	v_add_f16_e32 v82, v0, v1
	;; [unrolled: 1-line block ×3, first 2 shown]
	v_sub_f16_e32 v78, v7, v0
	v_sub_f16_e32 v88, v0, v7
	v_fma_f16 v96, -0.5, v41, v50
	v_add_f16_e32 v56, v56, v58
	v_sub_f16_e32 v58, v8, v9
	v_add_f16_e32 v68, v68, v70
	v_sub_f16_e32 v70, v0, v1
	v_sub_f16_e32 v71, v71, v77
	;; [unrolled: 1-line block ×3, first 2 shown]
	v_add_f16_e32 v3, v3, v8
	v_add_f16_e32 v8, v42, v73
	;; [unrolled: 1-line block ×5, first 2 shown]
	v_sub_f16_e32 v44, v89, v87
	v_fmac_f16_e32 v50, -0.5, v53
	v_sub_f16_e32 v53, v91, v93
	v_add_f16_e32 v61, v61, v62
	v_sub_f16_e32 v62, v73, v75
	v_fma_f16 v60, -0.5, v60, v52
	v_fmac_f16_e32 v52, -0.5, v63
	v_sub_f16_e32 v63, v5, v6
	v_fma_f16 v41, -0.5, v28, v69
	v_fmac_f16_e32 v69, -0.5, v29
	v_add_f16_e32 v5, v59, v5
	v_add_f16_e32 v29, v66, v81
	v_sub_f16_e32 v74, v81, v79
	v_fma_f16 v67, -0.5, v67, v51
	v_sub_f16_e32 v79, v79, v85
	v_sub_f16_e32 v4, v4, v11
	;; [unrolled: 1-line block ×3, first 2 shown]
	v_add_f16_e32 v30, v30, v40
	v_add_f16_e32 v64, v64, v65
	v_sub_f16_e32 v65, v81, v84
	v_fmac_f16_e32 v51, -0.5, v72
	v_sub_f16_e32 v72, v89, v91
	v_sub_f16_e32 v87, v87, v93
	;; [unrolled: 1-line block ×3, first 2 shown]
	v_fma_f16 v40, -0.5, v82, v55
	v_fmac_f16_e32 v55, -0.5, v83
	v_sub_f16_e32 v80, v2, v1
	v_sub_f16_e32 v90, v1, v2
	v_add_f16_e32 v3, v3, v9
	v_add_f16_e32 v0, v0, v1
	;; [unrolled: 1-line block ×3, first 2 shown]
	v_fmamk_f16 v9, v71, 0x3b9c, v25
	v_fmamk_f16 v42, v54, 0xbb9c, v96
	v_add_f16_e32 v28, v44, v53
	v_add_f16_e32 v5, v5, v6
	;; [unrolled: 1-line block ×3, first 2 shown]
	v_fmamk_f16 v29, v62, 0xbb9c, v27
	v_fmac_f16_e32 v27, 0x3b9c, v62
	v_fmamk_f16 v44, v58, 0x3b9c, v50
	v_fmac_f16_e32 v50, 0xbb9c, v58
	v_fmac_f16_e32 v25, 0xbb9c, v71
	;; [unrolled: 1-line block ×3, first 2 shown]
	v_fmamk_f16 v53, v79, 0x3b9c, v60
	v_fmamk_f16 v66, v4, 0xbb9c, v67
	v_sub_f16_e32 v76, v84, v85
	v_sub_f16_e32 v94, v93, v91
	v_add_f16_e32 v8, v8, v75
	v_fmac_f16_e32 v60, 0xbb9c, v79
	v_fmamk_f16 v59, v65, 0xbb9c, v52
	v_fmac_f16_e32 v52, 0x3b9c, v65
	v_fmac_f16_e32 v67, 0x3b9c, v4
	v_fmamk_f16 v73, v63, 0x3b9c, v51
	v_fmac_f16_e32 v51, 0xbb9c, v63
	v_fmamk_f16 v75, v87, 0x3b9c, v40
	;; [unrolled: 2-line block ×5, first 2 shown]
	v_fmac_f16_e32 v69, 0xbb9c, v70
	v_fmac_f16_e32 v9, 0x38b4, v62
	;; [unrolled: 1-line block ×11, first 2 shown]
	v_add_f16_e32 v74, v74, v76
	v_add_f16_e32 v76, v78, v80
	v_add_f16_e32 v78, v88, v90
	v_add_f16_e32 v80, v92, v94
	v_fmac_f16_e32 v60, 0xb8b4, v65
	v_fmac_f16_e32 v59, 0x38b4, v79
	;; [unrolled: 1-line block ×12, first 2 shown]
	v_add_f16_e32 v3, v3, v10
	v_add_f16_e32 v8, v8, v77
	;; [unrolled: 1-line block ×3, first 2 shown]
	v_fmac_f16_e32 v81, 0x38b4, v87
	v_add_f16_e32 v1, v1, v93
	v_fmac_f16_e32 v83, 0xb8b4, v7
	v_fmac_f16_e32 v9, 0x34f2, v26
	;; [unrolled: 1-line block ×3, first 2 shown]
	v_add_f16_e32 v5, v5, v11
	v_add_f16_e32 v6, v6, v85
	v_fmac_f16_e32 v29, 0x34f2, v30
	v_fmac_f16_e32 v27, 0x34f2, v30
	;; [unrolled: 1-line block ×22, first 2 shown]
	v_pack_b32_f16 v2, v3, v8
	v_pack_b32_f16 v0, v0, v1
	;; [unrolled: 1-line block ×15, first 2 shown]
	ds_write2_b32 v48, v2, v1 offset1:24
	ds_write2_b32 v48, v4, v5 offset0:48 offset1:72
	ds_write_b32 v48, v6 offset:384
	ds_write2_b32 v31, v3, v7 offset1:24
	ds_write2_b32 v31, v8, v9 offset0:48 offset1:72
	ds_write_b32 v31, v10 offset:384
	;; [unrolled: 3-line block ×3, first 2 shown]
	s_waitcnt lgkmcnt(0)
	s_barrier
	buffer_gl0_inv
	ds_read2_b32 v[4:5], v32 offset1:120
	ds_read2_b32 v[30:31], v32 offset0:176 offset1:240
	ds_read2st64_b32 v[28:29], v46 offset0:4 offset1:5
	ds_read2st64_b32 v[26:27], v47 offset0:6 offset1:7
	;; [unrolled: 1-line block ×4, first 2 shown]
	ds_read_b32 v47, v39
	ds_read_b32 v48, v32 offset:3104
                                        ; implicit-def: $vgpr42
                                        ; implicit-def: $vgpr43
                                        ; implicit-def: $vgpr1
                                        ; implicit-def: $vgpr46
                                        ; implicit-def: $vgpr3
                                        ; implicit-def: $vgpr44
                                        ; implicit-def: $vgpr45
	s_and_saveexec_b32 s2, s1
	s_cbranch_execz .LBB0_25
; %bb.24:
	v_add_nc_u32_e32 v0, 0x200, v32
	v_add_nc_u32_e32 v1, 0x600, v32
	;; [unrolled: 1-line block ×3, first 2 shown]
	ds_read_b32 v40, v38
	ds_read2_b32 v[24:25], v0 offset0:104 offset1:224
	ds_read2_b32 v[0:1], v1 offset0:88 offset1:208
	;; [unrolled: 1-line block ×3, first 2 shown]
	s_waitcnt lgkmcnt(3)
	v_lshrrev_b32_e32 v41, 16, v40
	s_waitcnt lgkmcnt(2)
	v_lshrrev_b32_e32 v17, 16, v24
	v_lshrrev_b32_e32 v42, 16, v25
	s_waitcnt lgkmcnt(1)
	v_lshrrev_b32_e32 v45, 16, v0
	;; [unrolled: 3-line block ×3, first 2 shown]
	v_lshrrev_b32_e32 v46, 16, v3
.LBB0_25:
	s_or_b32 exec_lo, exec_lo, s2
	v_mul_u32_u24_e32 v6, 6, v12
	v_mov_b32_e32 v7, 0
	s_waitcnt lgkmcnt(2)
	v_lshrrev_b32_e32 v66, 16, v9
	v_lshrrev_b32_e32 v67, 16, v11
	;; [unrolled: 1-line block ×3, first 2 shown]
	v_lshlrev_b32_e32 v53, 2, v6
	v_mul_i32_i24_e32 v6, 6, v16
	v_lshrrev_b32_e32 v69, 16, v29
	v_lshrrev_b32_e32 v70, 16, v31
	;; [unrolled: 1-line block ×3, first 2 shown]
	s_clause 0x1
	global_load_dwordx4 v[49:52], v53, s[8:9] offset:472
	global_load_dwordx2 v[57:58], v53, s[8:9] offset:488
	v_lshlrev_b64 v[53:54], 2, v[6:7]
	v_lshrrev_b32_e32 v61, 16, v10
	v_lshrrev_b32_e32 v62, 16, v8
	s_waitcnt lgkmcnt(0)
	v_lshrrev_b32_e32 v63, 16, v48
	v_lshrrev_b32_e32 v64, 16, v28
	;; [unrolled: 1-line block ×3, first 2 shown]
	v_add_co_u32 v59, s2, s8, v53
	v_add_co_ci_u32_e64 v60, s2, s9, v54, s2
	v_lshrrev_b32_e32 v6, 16, v26
	s_clause 0x1
	global_load_dwordx4 v[53:56], v[59:60], off offset:472
	global_load_dwordx2 v[59:60], v[59:60], off offset:488
	v_add_nc_u32_e32 v72, 0x200, v32
	v_add_nc_u32_e32 v73, 0x600, v32
	s_waitcnt vmcnt(0)
	s_barrier
	buffer_gl0_inv
	v_add_nc_u32_e32 v74, 0x200, v39
	v_add_nc_u32_e32 v75, 0x600, v39
	v_mul_f16_sdwa v76, v49, v71 dst_sel:DWORD dst_unused:UNUSED_PAD src0_sel:WORD_1 src1_sel:DWORD
	v_mul_f16_sdwa v77, v49, v5 dst_sel:DWORD dst_unused:UNUSED_PAD src0_sel:WORD_1 src1_sel:DWORD
	;; [unrolled: 1-line block ×12, first 2 shown]
	v_fma_f16 v5, v49, v5, -v76
	v_fmac_f16_e32 v77, v49, v71
	v_fma_f16 v31, v50, v31, -v78
	v_fmac_f16_e32 v79, v50, v70
	;; [unrolled: 2-line block ×6, first 2 shown]
	v_mul_f16_sdwa v49, v53, v65 dst_sel:DWORD dst_unused:UNUSED_PAD src0_sel:WORD_1 src1_sel:DWORD
	v_mul_f16_sdwa v50, v53, v30 dst_sel:DWORD dst_unused:UNUSED_PAD src0_sel:WORD_1 src1_sel:DWORD
	;; [unrolled: 1-line block ×4, first 2 shown]
	v_mul_f16_sdwa v58, v26, v55 dst_sel:DWORD dst_unused:UNUSED_PAD src0_sel:DWORD src1_sel:WORD_1
	v_mul_f16_sdwa v66, v61, v56 dst_sel:DWORD dst_unused:UNUSED_PAD src0_sel:DWORD src1_sel:WORD_1
	;; [unrolled: 1-line block ×8, first 2 shown]
	v_add_f16_e32 v76, v5, v9
	v_add_f16_e32 v78, v77, v87
	v_sub_f16_e32 v5, v5, v9
	v_sub_f16_e32 v9, v77, v87
	v_add_f16_e32 v77, v31, v11
	v_add_f16_e32 v80, v79, v85
	v_sub_f16_e32 v11, v31, v11
	v_sub_f16_e32 v31, v79, v85
	;; [unrolled: 4-line block ×3, first 2 shown]
	v_fma_f16 v30, v53, v30, -v49
	v_fmac_f16_e32 v50, v53, v65
	v_fma_f16 v28, v54, v28, -v51
	v_fmac_f16_e32 v52, v54, v64
	v_fmac_f16_e32 v58, v6, v55
	v_fma_f16 v6, v10, v56, -v66
	v_fma_f16 v8, v8, v59, -v68
	v_fmac_f16_e32 v69, v62, v59
	v_fma_f16 v10, v48, v60, -v70
	v_fmac_f16_e32 v71, v63, v60
	;; [unrolled: 2-line block ×3, first 2 shown]
	v_add_f16_e32 v48, v77, v76
	v_add_f16_e32 v49, v80, v78
	v_sub_f16_e32 v54, v76, v79
	v_sub_f16_e32 v55, v78, v82
	;; [unrolled: 1-line block ×4, first 2 shown]
	v_add_f16_e32 v59, v27, v11
	v_add_f16_e32 v60, v29, v31
	v_sub_f16_e32 v61, v27, v11
	v_sub_f16_e32 v62, v29, v31
	;; [unrolled: 1-line block ×4, first 2 shown]
	v_add_f16_e32 v63, v30, v10
	v_add_f16_e32 v64, v50, v71
	v_sub_f16_e32 v10, v30, v10
	v_sub_f16_e32 v30, v50, v71
	v_add_f16_e32 v50, v28, v8
	v_add_f16_e32 v65, v52, v69
	v_sub_f16_e32 v51, v77, v76
	v_sub_f16_e32 v53, v80, v78
	;; [unrolled: 1-line block ×6, first 2 shown]
	v_add_f16_e32 v52, v26, v6
	v_add_f16_e32 v66, v58, v67
	v_sub_f16_e32 v6, v6, v26
	v_sub_f16_e32 v26, v67, v58
	v_add_f16_e32 v48, v79, v48
	v_add_f16_e32 v49, v82, v49
	;; [unrolled: 1-line block ×4, first 2 shown]
	v_mul_f16_e32 v54, 0x3a52, v54
	v_mul_f16_e32 v55, 0x3a52, v55
	;; [unrolled: 1-line block ×8, first 2 shown]
	v_add_f16_e32 v68, v50, v63
	v_add_f16_e32 v69, v65, v64
	v_sub_f16_e32 v70, v50, v63
	v_sub_f16_e32 v71, v65, v64
	;; [unrolled: 1-line block ×5, first 2 shown]
	v_add_f16_e32 v76, v6, v8
	v_add_f16_e32 v77, v26, v28
	v_sub_f16_e32 v78, v6, v8
	v_sub_f16_e32 v79, v26, v28
	v_sub_f16_e32 v8, v8, v10
	v_sub_f16_e32 v28, v28, v30
	v_add_f16_e32 v80, v48, v4
	v_add_f16_sdwa v4, v49, v4 dst_sel:DWORD dst_unused:UNUSED_PAD src0_sel:DWORD src1_sel:WORD_1
	v_fmamk_f16 v56, v56, 0x2b26, v54
	v_fmamk_f16 v57, v57, 0x2b26, v55
	v_fma_f16 v58, v51, 0x39e0, -v58
	v_fma_f16 v59, v53, 0x39e0, -v59
	v_fma_f16 v51, v51, 0xb9e0, -v54
	v_fma_f16 v53, v53, 0xb9e0, -v55
	v_fmamk_f16 v54, v27, 0x3574, v60
	v_fmamk_f16 v55, v29, 0x3574, v61
	v_fma_f16 v11, v11, 0x3b00, -v60
	v_fma_f16 v31, v31, 0x3b00, -v61
	v_fma_f16 v27, v27, 0xb574, -v62
	v_fma_f16 v29, v29, 0xb574, -v67
	v_add_f16_e32 v52, v52, v68
	v_add_f16_e32 v60, v66, v69
	v_sub_f16_e32 v65, v66, v65
	v_sub_f16_e32 v6, v10, v6
	;; [unrolled: 1-line block ×3, first 2 shown]
	v_mul_f16_e32 v61, 0x3a52, v63
	v_mul_f16_e32 v62, 0x3a52, v64
	;; [unrolled: 1-line block ×7, first 2 shown]
	v_fmamk_f16 v48, v48, 0xbcab, v80
	v_fmamk_f16 v49, v49, 0xbcab, v4
	v_fmac_f16_e32 v54, 0x370e, v5
	v_fmac_f16_e32 v55, 0x370e, v9
	;; [unrolled: 1-line block ×6, first 2 shown]
	v_add_f16_e32 v5, v52, v47
	v_add_f16_sdwa v9, v60, v47 dst_sel:DWORD dst_unused:UNUSED_PAD src0_sel:DWORD src1_sel:WORD_1
	v_mul_f16_e32 v64, 0x2b26, v65
	v_add_f16_e32 v10, v76, v10
	v_add_f16_e32 v30, v77, v30
	v_fmamk_f16 v47, v50, 0x2b26, v61
	v_fmamk_f16 v50, v65, 0x2b26, v62
	v_fma_f16 v63, v70, 0x39e0, -v63
	v_fma_f16 v61, v70, 0xb9e0, -v61
	v_fmamk_f16 v65, v6, 0x3574, v66
	v_fmamk_f16 v70, v26, 0x3574, v67
	v_fma_f16 v8, v8, 0x3b00, -v66
	v_fma_f16 v28, v28, 0x3b00, -v67
	;; [unrolled: 1-line block ×4, first 2 shown]
	v_add_f16_e32 v56, v56, v48
	v_add_f16_e32 v57, v57, v49
	;; [unrolled: 1-line block ×6, first 2 shown]
	v_fmamk_f16 v51, v52, 0xbcab, v5
	v_fmamk_f16 v52, v60, 0xbcab, v9
	v_fma_f16 v64, v71, 0x39e0, -v64
	v_fma_f16 v62, v71, 0xb9e0, -v62
	v_fmac_f16_e32 v65, 0x370e, v10
	v_fmac_f16_e32 v70, 0x370e, v30
	;; [unrolled: 1-line block ×6, first 2 shown]
	v_pack_b32_f16 v5, v5, v9
	v_add_f16_e32 v9, v55, v56
	v_sub_f16_e32 v10, v57, v54
	v_add_f16_e32 v30, v29, v48
	v_sub_f16_e32 v53, v49, v27
	v_sub_f16_e32 v60, v58, v31
	v_add_f16_e32 v66, v11, v59
	v_add_f16_e32 v31, v31, v58
	v_sub_f16_e32 v11, v59, v11
	v_sub_f16_e32 v29, v48, v29
	v_add_f16_e32 v27, v27, v49
	v_sub_f16_e32 v48, v56, v55
	v_add_f16_e32 v49, v54, v57
	v_add_f16_e32 v47, v47, v51
	;; [unrolled: 1-line block ×7, first 2 shown]
	v_pack_b32_f16 v4, v80, v4
	v_pack_b32_f16 v9, v9, v10
	;; [unrolled: 1-line block ×5, first 2 shown]
	v_add_f16_e32 v31, v70, v47
	v_sub_f16_e32 v48, v50, v65
	v_pack_b32_f16 v10, v30, v53
	v_pack_b32_f16 v30, v60, v66
	v_add_f16_e32 v49, v26, v51
	v_sub_f16_e32 v53, v52, v6
	v_sub_f16_e32 v56, v54, v28
	v_add_f16_e32 v57, v8, v55
	v_add_f16_e32 v28, v28, v54
	v_sub_f16_e32 v8, v55, v8
	v_sub_f16_e32 v26, v51, v26
	v_add_f16_e32 v6, v6, v52
	v_sub_f16_e32 v47, v47, v70
	v_add_f16_e32 v50, v65, v50
	ds_write2_b32 v32, v4, v9 offset1:120
	ds_write2_b32 v72, v10, v30 offset0:112 offset1:232
	ds_write2_b32 v73, v11, v27 offset0:96 offset1:216
	v_pack_b32_f16 v4, v31, v48
	v_pack_b32_f16 v9, v49, v53
	;; [unrolled: 1-line block ×6, first 2 shown]
	ds_write_b32 v32, v29 offset:2880
	ds_write2_b32 v39, v5, v4 offset1:120
	ds_write2_b32 v74, v9, v10 offset0:112 offset1:232
	ds_write2_b32 v75, v8, v6 offset0:96 offset1:216
	ds_write_b32 v39, v11 offset:2880
	s_and_saveexec_b32 s2, s1
	s_cbranch_execz .LBB0_27
; %bb.26:
	v_add_nc_u32_e32 v4, -8, v12
	v_add_nc_u32_e32 v10, 0x400, v32
	v_add_nc_u32_e32 v11, 0x800, v32
	v_cndmask_b32_e64 v4, v4, v23, s1
	v_mul_i32_i24_e32 v6, 6, v4
	v_lshlrev_b64 v[4:5], 2, v[6:7]
	v_add_co_u32 v8, s1, s8, v4
	v_add_co_ci_u32_e64 v9, s1, s9, v5, s1
	s_clause 0x1
	global_load_dwordx4 v[4:7], v[8:9], off offset:472
	global_load_dwordx2 v[8:9], v[8:9], off offset:488
	s_waitcnt vmcnt(1)
	v_mul_f16_sdwa v26, v17, v4 dst_sel:DWORD dst_unused:UNUSED_PAD src0_sel:DWORD src1_sel:WORD_1
	s_waitcnt vmcnt(0)
	v_mul_f16_sdwa v27, v46, v9 dst_sel:DWORD dst_unused:UNUSED_PAD src0_sel:DWORD src1_sel:WORD_1
	v_mul_f16_sdwa v28, v43, v7 dst_sel:DWORD dst_unused:UNUSED_PAD src0_sel:DWORD src1_sel:WORD_1
	;; [unrolled: 1-line block ×11, first 2 shown]
	v_fma_f16 v24, v24, v4, -v26
	v_fma_f16 v3, v3, v9, -v27
	;; [unrolled: 1-line block ×6, first 2 shown]
	v_fmac_f16_e32 v47, v46, v9
	v_fmac_f16_e32 v48, v17, v4
	;; [unrolled: 1-line block ×6, first 2 shown]
	v_sub_f16_e32 v4, v24, v3
	v_sub_f16_e32 v5, v1, v0
	v_add_f16_e32 v7, v48, v47
	v_add_f16_e32 v9, v52, v51
	;; [unrolled: 1-line block ×5, first 2 shown]
	v_sub_f16_e32 v6, v25, v2
	v_add_f16_e32 v8, v49, v50
	v_sub_f16_e32 v2, v48, v47
	v_sub_f16_e32 v17, v50, v49
	;; [unrolled: 1-line block ×3, first 2 shown]
	v_add_f16_e32 v29, v9, v7
	v_add_f16_e32 v42, v1, v3
	v_sub_f16_e32 v25, v4, v5
	v_sub_f16_e32 v26, v5, v6
	v_add_f16_e32 v5, v5, v6
	v_sub_f16_e32 v27, v7, v8
	v_sub_f16_e32 v28, v8, v9
	v_sub_f16_e32 v30, v3, v0
	v_sub_f16_e32 v31, v0, v1
	v_sub_f16_e32 v43, v2, v17
	v_sub_f16_e32 v44, v17, v24
	v_add_f16_e32 v17, v17, v24
	v_sub_f16_e32 v6, v6, v4
	v_add_f16_e32 v8, v8, v29
	v_add_f16_e32 v0, v0, v42
	v_sub_f16_e32 v1, v1, v3
	v_sub_f16_e32 v3, v24, v2
	;; [unrolled: 1-line block ×3, first 2 shown]
	v_mul_f16_e32 v9, 0xb846, v26
	v_add_f16_e32 v4, v5, v4
	v_mul_f16_e32 v5, 0x3a52, v27
	v_mul_f16_e32 v24, 0x2b26, v28
	;; [unrolled: 1-line block ×4, first 2 shown]
	v_add_f16_e32 v2, v17, v2
	v_mul_f16_e32 v17, 0x3b00, v6
	v_add_f16_e32 v41, v41, v8
	v_add_f16_e32 v40, v40, v0
	v_mul_f16_e32 v27, 0x2b26, v31
	v_mul_f16_e32 v30, 0x3b00, v3
	v_fmamk_f16 v42, v25, 0x3574, v9
	v_fmamk_f16 v28, v28, 0x2b26, v5
	;; [unrolled: 1-line block ×4, first 2 shown]
	v_fma_f16 v17, v25, 0xb574, -v17
	v_fma_f16 v5, v7, 0xb9e0, -v5
	;; [unrolled: 1-line block ×4, first 2 shown]
	v_fmamk_f16 v8, v8, 0xbcab, v41
	v_fmamk_f16 v0, v0, 0xbcab, v40
	v_fma_f16 v25, v1, 0xb9e0, -v26
	v_fma_f16 v26, v43, 0xb574, -v30
	;; [unrolled: 1-line block ×4, first 2 shown]
	v_fmac_f16_e32 v42, 0x370e, v4
	v_fmac_f16_e32 v44, 0x370e, v2
	;; [unrolled: 1-line block ×4, first 2 shown]
	v_add_f16_e32 v4, v28, v8
	v_add_f16_e32 v9, v31, v0
	;; [unrolled: 1-line block ×3, first 2 shown]
	v_fmac_f16_e32 v26, 0x370e, v2
	v_fmac_f16_e32 v3, 0x370e, v2
	v_add_f16_e32 v5, v5, v8
	v_add_f16_e32 v24, v25, v0
	;; [unrolled: 1-line block ×4, first 2 shown]
	v_sub_f16_e32 v27, v7, v6
	v_add_f16_e32 v6, v6, v7
	v_sub_f16_e32 v4, v4, v42
	v_add_f16_e32 v7, v44, v9
	;; [unrolled: 2-line block ×5, first 2 shown]
	v_sub_f16_e32 v3, v24, v26
	v_pack_b32_f16 v2, v40, v41
	v_pack_b32_f16 v4, v7, v4
	;; [unrolled: 1-line block ×7, first 2 shown]
	ds_write2_b32 v32, v2, v4 offset0:112 offset1:232
	ds_write2_b32 v10, v5, v6 offset0:96 offset1:216
	ds_write2_b32 v11, v0, v3 offset0:80 offset1:200
	ds_write_b32 v32, v1 offset:3328
.LBB0_27:
	s_or_b32 exec_lo, exec_lo, s2
	s_waitcnt lgkmcnt(0)
	s_barrier
	buffer_gl0_inv
	ds_read_b32 v4, v32
	v_sub_nc_u32_e32 v0, 0, v13
	s_add_u32 s2, s8, 0xd18
	s_addc_u32 s3, s9, 0
	s_mov_b32 s4, exec_lo
                                        ; implicit-def: $vgpr3
                                        ; implicit-def: $vgpr2
                                        ; implicit-def: $vgpr1
	v_cmpx_ne_u32_e32 0, v12
	s_xor_b32 s4, exec_lo, s4
	s_cbranch_execz .LBB0_29
; %bb.28:
	v_mov_b32_e32 v13, 0
	v_lshlrev_b64 v[1:2], 2, v[12:13]
	v_add_co_u32 v1, s1, s2, v1
	v_add_co_ci_u32_e64 v2, s1, s3, v2, s1
	global_load_dword v3, v[1:2], off
	ds_read_b32 v1, v0 offset:3360
	s_waitcnt lgkmcnt(0)
	v_sub_f16_e32 v2, v4, v1
	v_add_f16_sdwa v5, v1, v4 dst_sel:DWORD dst_unused:UNUSED_PAD src0_sel:WORD_1 src1_sel:WORD_1
	v_sub_f16_sdwa v6, v4, v1 dst_sel:DWORD dst_unused:UNUSED_PAD src0_sel:WORD_1 src1_sel:WORD_1
	v_add_f16_e32 v1, v1, v4
	v_mul_f16_e32 v7, 0.5, v2
	v_mul_f16_e32 v4, 0.5, v5
	;; [unrolled: 1-line block ×3, first 2 shown]
	s_waitcnt vmcnt(0)
	v_lshrrev_b32_e32 v2, 16, v3
	v_mul_f16_e32 v6, v2, v7
	v_fma_f16 v8, v4, v2, v5
	v_fma_f16 v5, v4, v2, -v5
	v_fma_f16 v9, 0.5, v1, v6
	v_fma_f16 v6, v1, 0.5, -v6
	v_fma_f16 v1, -v3, v7, v8
	v_fmac_f16_e32 v9, v3, v4
	v_fma_f16 v2, -v3, v4, v6
	v_fma_f16 v3, -v3, v7, v5
                                        ; implicit-def: $vgpr4
	ds_write_b16 v32, v9
.LBB0_29:
	s_andn2_saveexec_b32 s1, s4
	s_cbranch_execz .LBB0_31
; %bb.30:
	v_mov_b32_e32 v1, 0
	s_waitcnt lgkmcnt(0)
	v_add_f16_sdwa v5, v4, v4 dst_sel:DWORD dst_unused:UNUSED_PAD src0_sel:WORD_1 src1_sel:DWORD
	v_sub_f16_sdwa v2, v4, v4 dst_sel:DWORD dst_unused:UNUSED_PAD src0_sel:DWORD src1_sel:WORD_1
	ds_read_u16 v3, v1 offset:1682
	s_waitcnt lgkmcnt(0)
	v_xor_b32_e32 v4, 0x8000, v3
	v_mov_b32_e32 v3, 0
	ds_write_b16 v32, v5
	ds_write_b16 v1, v4 offset:1682
.LBB0_31:
	s_or_b32 exec_lo, exec_lo, s1
	v_mov_b32_e32 v17, 0
	s_waitcnt lgkmcnt(0)
	v_lshlrev_b64 v[4:5], 2, v[16:17]
	v_mov_b32_e32 v24, v17
	v_add_co_u32 v4, s1, s2, v4
	v_add_co_ci_u32_e64 v5, s1, s3, v5, s1
	global_load_dword v6, v[4:5], off
	v_lshlrev_b64 v[4:5], 2, v[23:24]
	v_mov_b32_e32 v23, v17
	v_add_co_u32 v4, s1, s2, v4
	v_add_co_ci_u32_e64 v5, s1, s3, v5, s1
	global_load_dword v7, v[4:5], off
	;; [unrolled: 5-line block ×5, first 2 shown]
	v_perm_b32 v5, v3, v2, 0x5040100
	v_lshlrev_b64 v[2:3], 2, v[19:20]
	ds_write_b16 v32, v1 offset:2
	ds_write_b32 v0, v5 offset:3360
	ds_read_b32 v5, v39
	ds_read_b32 v10, v0 offset:3136
	v_add_co_u32 v1, s1, s2, v2
	v_add_co_ci_u32_e64 v2, s1, s3, v3, s1
	global_load_dword v1, v[1:2], off
	s_waitcnt lgkmcnt(0)
	v_pk_add_f16 v2, v5, v10 neg_lo:[0,1] neg_hi:[0,1]
	v_pk_add_f16 v3, v5, v10
	v_bfi_b32 v5, 0xffff, v2, v3
	v_bfi_b32 v2, 0xffff, v3, v2
	v_pk_mul_f16 v3, v5, 0.5 op_sel_hi:[1,0]
	v_pk_mul_f16 v2, v2, 0.5 op_sel_hi:[1,0]
	s_waitcnt vmcnt(5)
	v_pk_fma_f16 v5, v6, v3, v2 op_sel:[1,0,0]
	v_pk_mul_f16 v10, v6, v3 op_sel_hi:[0,1]
	v_pk_fma_f16 v11, v6, v3, v2 op_sel:[1,0,0] neg_lo:[1,0,0] neg_hi:[1,0,0]
	v_pk_fma_f16 v2, v6, v3, v2 op_sel:[1,0,0] neg_lo:[0,0,1] neg_hi:[0,0,1]
	v_pk_add_f16 v3, v5, v10 op_sel:[0,1] op_sel_hi:[1,0]
	v_pk_add_f16 v5, v5, v10 op_sel:[0,1] op_sel_hi:[1,0] neg_lo:[0,1] neg_hi:[0,1]
	v_pk_add_f16 v6, v11, v10 op_sel:[0,1] op_sel_hi:[1,0] neg_lo:[0,1] neg_hi:[0,1]
	v_pk_add_f16 v2, v2, v10 op_sel:[0,1] op_sel_hi:[1,0] neg_lo:[0,1] neg_hi:[0,1]
	v_bfi_b32 v3, 0xffff, v3, v5
	v_bfi_b32 v2, 0xffff, v6, v2
	ds_write_b32 v39, v3
	ds_write_b32 v0, v2 offset:3136
	ds_read_b32 v2, v38
	ds_read_b32 v3, v0 offset:2912
	s_waitcnt lgkmcnt(0)
	v_pk_add_f16 v5, v2, v3 neg_lo:[0,1] neg_hi:[0,1]
	v_pk_add_f16 v2, v2, v3
	v_bfi_b32 v3, 0xffff, v5, v2
	v_bfi_b32 v2, 0xffff, v2, v5
	v_pk_mul_f16 v3, v3, 0.5 op_sel_hi:[1,0]
	v_pk_mul_f16 v2, v2, 0.5 op_sel_hi:[1,0]
	s_waitcnt vmcnt(4)
	v_pk_mul_f16 v6, v7, v3 op_sel_hi:[0,1]
	v_pk_fma_f16 v5, v7, v3, v2 op_sel:[1,0,0]
	v_pk_fma_f16 v10, v7, v3, v2 op_sel:[1,0,0] neg_lo:[1,0,0] neg_hi:[1,0,0]
	v_pk_fma_f16 v2, v7, v3, v2 op_sel:[1,0,0] neg_lo:[0,0,1] neg_hi:[0,0,1]
	v_pk_add_f16 v3, v5, v6 op_sel:[0,1] op_sel_hi:[1,0]
	v_pk_add_f16 v5, v5, v6 op_sel:[0,1] op_sel_hi:[1,0] neg_lo:[0,1] neg_hi:[0,1]
	v_pk_add_f16 v7, v10, v6 op_sel:[0,1] op_sel_hi:[1,0] neg_lo:[0,1] neg_hi:[0,1]
	v_pk_add_f16 v2, v2, v6 op_sel:[0,1] op_sel_hi:[1,0] neg_lo:[0,1] neg_hi:[0,1]
	v_bfi_b32 v3, 0xffff, v3, v5
	v_bfi_b32 v2, 0xffff, v7, v2
	ds_write_b32 v38, v3
	ds_write_b32 v0, v2 offset:2912
	ds_read_b32 v2, v37
	ds_read_b32 v3, v0 offset:2688
	s_waitcnt lgkmcnt(0)
	v_pk_add_f16 v5, v2, v3 neg_lo:[0,1] neg_hi:[0,1]
	v_pk_add_f16 v2, v2, v3
	v_bfi_b32 v3, 0xffff, v5, v2
	v_bfi_b32 v2, 0xffff, v2, v5
	v_pk_mul_f16 v3, v3, 0.5 op_sel_hi:[1,0]
	v_pk_mul_f16 v2, v2, 0.5 op_sel_hi:[1,0]
	s_waitcnt vmcnt(3)
	v_pk_mul_f16 v6, v8, v3 op_sel_hi:[0,1]
	v_pk_fma_f16 v5, v8, v3, v2 op_sel:[1,0,0]
	;; [unrolled: 22-line block ×5, first 2 shown]
	v_pk_fma_f16 v6, v1, v3, v2 op_sel:[1,0,0] neg_lo:[1,0,0] neg_hi:[1,0,0]
	v_pk_fma_f16 v1, v1, v3, v2 op_sel:[1,0,0] neg_lo:[0,0,1] neg_hi:[0,0,1]
	v_pk_add_f16 v2, v4, v5 op_sel:[0,1] op_sel_hi:[1,0]
	v_pk_add_f16 v3, v4, v5 op_sel:[0,1] op_sel_hi:[1,0] neg_lo:[0,1] neg_hi:[0,1]
	v_pk_add_f16 v4, v6, v5 op_sel:[0,1] op_sel_hi:[1,0] neg_lo:[0,1] neg_hi:[0,1]
	;; [unrolled: 1-line block ×3, first 2 shown]
	v_bfi_b32 v2, 0xffff, v2, v3
	v_bfi_b32 v1, 0xffff, v4, v1
	ds_write_b32 v34, v2
	ds_write_b32 v0, v1 offset:2016
	s_and_saveexec_b32 s1, s0
	s_cbranch_execz .LBB0_33
; %bb.32:
	v_mov_b32_e32 v19, v17
	v_lshlrev_b64 v[1:2], 2, v[18:19]
	v_add_co_u32 v1, s0, s2, v1
	v_add_co_ci_u32_e64 v2, s0, s3, v2, s0
	global_load_dword v1, v[1:2], off
	ds_read_b32 v2, v33
	ds_read_b32 v3, v0 offset:1792
	s_waitcnt lgkmcnt(0)
	v_pk_add_f16 v4, v2, v3 neg_lo:[0,1] neg_hi:[0,1]
	v_pk_add_f16 v2, v2, v3
	v_bfi_b32 v3, 0xffff, v4, v2
	v_bfi_b32 v2, 0xffff, v2, v4
	v_pk_mul_f16 v3, v3, 0.5 op_sel_hi:[1,0]
	v_pk_mul_f16 v2, v2, 0.5 op_sel_hi:[1,0]
	s_waitcnt vmcnt(0)
	v_pk_fma_f16 v4, v1, v3, v2 op_sel:[1,0,0]
	v_pk_mul_f16 v5, v1, v3 op_sel_hi:[0,1]
	v_pk_fma_f16 v6, v1, v3, v2 op_sel:[1,0,0] neg_lo:[1,0,0] neg_hi:[1,0,0]
	v_pk_fma_f16 v1, v1, v3, v2 op_sel:[1,0,0] neg_lo:[0,0,1] neg_hi:[0,0,1]
	v_pk_add_f16 v2, v4, v5 op_sel:[0,1] op_sel_hi:[1,0]
	v_pk_add_f16 v3, v4, v5 op_sel:[0,1] op_sel_hi:[1,0] neg_lo:[0,1] neg_hi:[0,1]
	v_pk_add_f16 v4, v6, v5 op_sel:[0,1] op_sel_hi:[1,0] neg_lo:[0,1] neg_hi:[0,1]
	;; [unrolled: 1-line block ×3, first 2 shown]
	v_bfi_b32 v2, 0xffff, v2, v3
	v_bfi_b32 v1, 0xffff, v4, v1
	ds_write_b32 v33, v2
	ds_write_b32 v0, v1 offset:1792
.LBB0_33:
	s_or_b32 exec_lo, exec_lo, s1
	s_waitcnt lgkmcnt(0)
	s_barrier
	buffer_gl0_inv
	s_and_saveexec_b32 s0, vcc_lo
	s_cbranch_execz .LBB0_36
; %bb.34:
	v_add_nc_u32_e32 v0, 0x200, v32
	ds_read2_b32 v[2:3], v32 offset1:56
	ds_read2_b32 v[4:5], v32 offset0:112 offset1:168
	v_mov_b32_e32 v13, 0
	v_add_nc_u32_e32 v16, 0x400, v32
	v_add_nc_u32_e32 v18, 0x800, v32
	ds_read2_b32 v[8:9], v0 offset0:96 offset1:152
	v_add_co_u32 v0, vcc_lo, s12, v14
	v_lshlrev_b64 v[6:7], 2, v[12:13]
	v_add_co_ci_u32_e32 v1, vcc_lo, s13, v15, vcc_lo
	ds_read2_b32 v[10:11], v16 offset0:80 offset1:136
	ds_read2_b32 v[14:15], v16 offset0:192 offset1:248
	;; [unrolled: 1-line block ×4, first 2 shown]
	ds_read_b32 v20, v32 offset:3136
	v_add_co_u32 v6, vcc_lo, v0, v6
	v_add_co_ci_u32_e32 v7, vcc_lo, v1, v7, vcc_lo
	s_waitcnt lgkmcnt(7)
	global_store_dword v[6:7], v2, off
	global_store_dword v[6:7], v3, off offset:224
	s_waitcnt lgkmcnt(6)
	global_store_dword v[6:7], v4, off offset:448
	global_store_dword v[6:7], v5, off offset:672
	s_waitcnt lgkmcnt(5)
	global_store_dword v[6:7], v8, off offset:896
	global_store_dword v[6:7], v9, off offset:1120
	v_add_co_u32 v2, vcc_lo, 0x800, v6
	v_add_co_ci_u32_e32 v3, vcc_lo, 0, v7, vcc_lo
	v_cmp_eq_u32_e32 vcc_lo, 55, v12
	s_waitcnt lgkmcnt(4)
	global_store_dword v[6:7], v10, off offset:1344
	global_store_dword v[6:7], v11, off offset:1568
	s_waitcnt lgkmcnt(3)
	global_store_dword v[6:7], v14, off offset:1792
	global_store_dword v[6:7], v15, off offset:2016
	;; [unrolled: 3-line block ×4, first 2 shown]
	s_waitcnt lgkmcnt(0)
	global_store_dword v[2:3], v20, off offset:1088
	s_and_b32 exec_lo, exec_lo, vcc_lo
	s_cbranch_execz .LBB0_36
; %bb.35:
	ds_read_b32 v2, v13 offset:3360
	v_add_co_u32 v0, vcc_lo, 0x800, v0
	v_add_co_ci_u32_e32 v1, vcc_lo, 0, v1, vcc_lo
	s_waitcnt lgkmcnt(0)
	global_store_dword v[0:1], v2, off offset:1312
.LBB0_36:
	s_endpgm
	.section	.rodata,"a",@progbits
	.p2align	6, 0x0
	.amdhsa_kernel fft_rtc_fwd_len840_factors_2_2_2_3_5_7_wgs_56_tpt_56_halfLds_half_ip_CI_unitstride_sbrr_R2C_dirReg
		.amdhsa_group_segment_fixed_size 0
		.amdhsa_private_segment_fixed_size 0
		.amdhsa_kernarg_size 88
		.amdhsa_user_sgpr_count 6
		.amdhsa_user_sgpr_private_segment_buffer 1
		.amdhsa_user_sgpr_dispatch_ptr 0
		.amdhsa_user_sgpr_queue_ptr 0
		.amdhsa_user_sgpr_kernarg_segment_ptr 1
		.amdhsa_user_sgpr_dispatch_id 0
		.amdhsa_user_sgpr_flat_scratch_init 0
		.amdhsa_user_sgpr_private_segment_size 0
		.amdhsa_wavefront_size32 1
		.amdhsa_uses_dynamic_stack 0
		.amdhsa_system_sgpr_private_segment_wavefront_offset 0
		.amdhsa_system_sgpr_workgroup_id_x 1
		.amdhsa_system_sgpr_workgroup_id_y 0
		.amdhsa_system_sgpr_workgroup_id_z 0
		.amdhsa_system_sgpr_workgroup_info 0
		.amdhsa_system_vgpr_workitem_id 0
		.amdhsa_next_free_vgpr 97
		.amdhsa_next_free_sgpr 21
		.amdhsa_reserve_vcc 1
		.amdhsa_reserve_flat_scratch 0
		.amdhsa_float_round_mode_32 0
		.amdhsa_float_round_mode_16_64 0
		.amdhsa_float_denorm_mode_32 3
		.amdhsa_float_denorm_mode_16_64 3
		.amdhsa_dx10_clamp 1
		.amdhsa_ieee_mode 1
		.amdhsa_fp16_overflow 0
		.amdhsa_workgroup_processor_mode 1
		.amdhsa_memory_ordered 1
		.amdhsa_forward_progress 0
		.amdhsa_shared_vgpr_count 0
		.amdhsa_exception_fp_ieee_invalid_op 0
		.amdhsa_exception_fp_denorm_src 0
		.amdhsa_exception_fp_ieee_div_zero 0
		.amdhsa_exception_fp_ieee_overflow 0
		.amdhsa_exception_fp_ieee_underflow 0
		.amdhsa_exception_fp_ieee_inexact 0
		.amdhsa_exception_int_div_zero 0
	.end_amdhsa_kernel
	.text
.Lfunc_end0:
	.size	fft_rtc_fwd_len840_factors_2_2_2_3_5_7_wgs_56_tpt_56_halfLds_half_ip_CI_unitstride_sbrr_R2C_dirReg, .Lfunc_end0-fft_rtc_fwd_len840_factors_2_2_2_3_5_7_wgs_56_tpt_56_halfLds_half_ip_CI_unitstride_sbrr_R2C_dirReg
                                        ; -- End function
	.section	.AMDGPU.csdata,"",@progbits
; Kernel info:
; codeLenInByte = 11932
; NumSgprs: 23
; NumVgprs: 97
; ScratchSize: 0
; MemoryBound: 0
; FloatMode: 240
; IeeeMode: 1
; LDSByteSize: 0 bytes/workgroup (compile time only)
; SGPRBlocks: 2
; VGPRBlocks: 12
; NumSGPRsForWavesPerEU: 23
; NumVGPRsForWavesPerEU: 97
; Occupancy: 9
; WaveLimiterHint : 1
; COMPUTE_PGM_RSRC2:SCRATCH_EN: 0
; COMPUTE_PGM_RSRC2:USER_SGPR: 6
; COMPUTE_PGM_RSRC2:TRAP_HANDLER: 0
; COMPUTE_PGM_RSRC2:TGID_X_EN: 1
; COMPUTE_PGM_RSRC2:TGID_Y_EN: 0
; COMPUTE_PGM_RSRC2:TGID_Z_EN: 0
; COMPUTE_PGM_RSRC2:TIDIG_COMP_CNT: 0
	.text
	.p2alignl 6, 3214868480
	.fill 48, 4, 3214868480
	.type	__hip_cuid_3d978961b530fa08,@object ; @__hip_cuid_3d978961b530fa08
	.section	.bss,"aw",@nobits
	.globl	__hip_cuid_3d978961b530fa08
__hip_cuid_3d978961b530fa08:
	.byte	0                               ; 0x0
	.size	__hip_cuid_3d978961b530fa08, 1

	.ident	"AMD clang version 19.0.0git (https://github.com/RadeonOpenCompute/llvm-project roc-6.4.0 25133 c7fe45cf4b819c5991fe208aaa96edf142730f1d)"
	.section	".note.GNU-stack","",@progbits
	.addrsig
	.addrsig_sym __hip_cuid_3d978961b530fa08
	.amdgpu_metadata
---
amdhsa.kernels:
  - .args:
      - .actual_access:  read_only
        .address_space:  global
        .offset:         0
        .size:           8
        .value_kind:     global_buffer
      - .offset:         8
        .size:           8
        .value_kind:     by_value
      - .actual_access:  read_only
        .address_space:  global
        .offset:         16
        .size:           8
        .value_kind:     global_buffer
      - .actual_access:  read_only
        .address_space:  global
        .offset:         24
        .size:           8
        .value_kind:     global_buffer
      - .offset:         32
        .size:           8
        .value_kind:     by_value
      - .actual_access:  read_only
        .address_space:  global
        .offset:         40
        .size:           8
        .value_kind:     global_buffer
      - .actual_access:  read_only
        .address_space:  global
        .offset:         48
        .size:           8
        .value_kind:     global_buffer
      - .offset:         56
        .size:           4
        .value_kind:     by_value
      - .actual_access:  read_only
        .address_space:  global
        .offset:         64
        .size:           8
        .value_kind:     global_buffer
      - .actual_access:  read_only
        .address_space:  global
        .offset:         72
        .size:           8
        .value_kind:     global_buffer
      - .address_space:  global
        .offset:         80
        .size:           8
        .value_kind:     global_buffer
    .group_segment_fixed_size: 0
    .kernarg_segment_align: 8
    .kernarg_segment_size: 88
    .language:       OpenCL C
    .language_version:
      - 2
      - 0
    .max_flat_workgroup_size: 56
    .name:           fft_rtc_fwd_len840_factors_2_2_2_3_5_7_wgs_56_tpt_56_halfLds_half_ip_CI_unitstride_sbrr_R2C_dirReg
    .private_segment_fixed_size: 0
    .sgpr_count:     23
    .sgpr_spill_count: 0
    .symbol:         fft_rtc_fwd_len840_factors_2_2_2_3_5_7_wgs_56_tpt_56_halfLds_half_ip_CI_unitstride_sbrr_R2C_dirReg.kd
    .uniform_work_group_size: 1
    .uses_dynamic_stack: false
    .vgpr_count:     97
    .vgpr_spill_count: 0
    .wavefront_size: 32
    .workgroup_processor_mode: 1
amdhsa.target:   amdgcn-amd-amdhsa--gfx1030
amdhsa.version:
  - 1
  - 2
...

	.end_amdgpu_metadata
